;; amdgpu-corpus repo=ROCm/rocFFT kind=compiled arch=gfx950 opt=O3
	.text
	.amdgcn_target "amdgcn-amd-amdhsa--gfx950"
	.amdhsa_code_object_version 6
	.protected	bluestein_single_back_len729_dim1_dp_op_CI_CI ; -- Begin function bluestein_single_back_len729_dim1_dp_op_CI_CI
	.globl	bluestein_single_back_len729_dim1_dp_op_CI_CI
	.p2align	8
	.type	bluestein_single_back_len729_dim1_dp_op_CI_CI,@function
bluestein_single_back_len729_dim1_dp_op_CI_CI: ; @bluestein_single_back_len729_dim1_dp_op_CI_CI
; %bb.0:
	s_load_dwordx4 s[16:19], s[0:1], 0x28
	v_mul_u32_u24_e32 v1, 0x10e, v0
	v_add_u32_sdwa v64, s2, v1 dst_sel:DWORD dst_unused:UNUSED_PAD src0_sel:DWORD src1_sel:WORD_1
	v_mov_b32_e32 v65, 0
	s_waitcnt lgkmcnt(0)
	v_cmp_gt_u64_e32 vcc, s[16:17], v[64:65]
	s_and_saveexec_b64 s[2:3], vcc
	s_cbranch_execz .LBB0_2
; %bb.1:
	s_load_dwordx4 s[12:15], s[0:1], 0x18
	s_load_dwordx4 s[8:11], s[0:1], 0x0
	v_mov_b32_e32 v2, s18
	v_mov_b32_e32 v3, s19
	s_load_dwordx2 s[0:1], s[0:1], 0x38
	s_waitcnt lgkmcnt(0)
	s_load_dwordx4 s[4:7], s[14:15], 0x0
	s_waitcnt lgkmcnt(0)
	v_mad_u64_u32 v[66:67], s[2:3], s6, v64, 0
	s_load_dwordx4 s[12:15], s[12:13], 0x0
	v_mov_b32_e32 v6, v67
	v_mad_u64_u32 v[68:69], s[2:3], s7, v64, v[6:7]
	s_mov_b32 s7, 0xbfebb67a
	s_waitcnt lgkmcnt(0)
	v_mad_u64_u32 v[4:5], s[2:3], s14, v64, 0
	v_mov_b32_e32 v6, v5
	v_mad_u64_u32 v[6:7], s[2:3], s15, v64, v[6:7]
	s_movk_i32 s2, 0xf3
	s_nop 0
	v_mul_lo_u16_sdwa v1, v1, s2 dst_sel:DWORD dst_unused:UNUSED_PAD src0_sel:WORD_1 src1_sel:DWORD
	v_sub_u16_e32 v67, v0, v1
	v_mad_u64_u32 v[0:1], s[2:3], s12, v67, 0
	v_mov_b32_e32 v5, v6
	v_mov_b32_e32 v6, v1
	v_mad_u64_u32 v[6:7], s[2:3], s13, v67, v[6:7]
	v_mov_b32_e32 v1, v6
	v_lshl_add_u64 v[2:3], v[4:5], 4, v[2:3]
	v_lshlrev_b32_e32 v64, 4, v67
	v_lshl_add_u64 v[0:1], v[0:1], 4, v[2:3]
	v_lshl_add_u64 v[60:61], s[8:9], 0, v[64:65]
	v_mov_b32_e32 v65, 0xf30
	v_mad_u64_u32 v[8:9], s[2:3], s12, v65, v[0:1]
	s_mul_i32 s6, s13, 0xf30
	v_add_u32_e32 v9, s6, v9
	v_mad_u64_u32 v[24:25], s[2:3], s12, v65, v[8:9]
	global_load_dwordx4 v[12:15], v[0:1], off
	s_movk_i32 s2, 0x1000
	global_load_dwordx4 v[16:19], v[8:9], off
	global_load_dwordx4 v[0:3], v64, s[8:9]
	global_load_dwordx4 v[4:7], v64, s[8:9] offset:3888
	v_add_co_u32_e32 v26, vcc, s2, v60
	v_add_u32_e32 v25, s6, v25
	s_nop 0
	v_addc_co_u32_e32 v27, vcc, 0, v61, vcc
	global_load_dwordx4 v[8:11], v[26:27], off offset:3680
	global_load_dwordx4 v[20:23], v[24:25], off
	s_movk_i32 s8, 0xab
	v_mul_lo_u16_sdwa v25, v67, s8 dst_sel:DWORD dst_unused:UNUSED_PAD src0_sel:BYTE_0 src1_sel:DWORD
	v_mul_lo_u16_e32 v24, 3, v67
	v_lshrrev_b16_e32 v36, 9, v25
	v_lshlrev_b32_e32 v69, 4, v24
	v_mul_lo_u16_e32 v24, 3, v36
	v_sub_u16_e32 v24, v67, v24
	v_and_b32_e32 v37, 0xff, v24
	s_mov_b32 s2, 0xe8584caa
	s_mov_b32 s3, 0x3febb67a
	;; [unrolled: 1-line block ×3, first 2 shown]
	v_lshlrev_b32_e32 v38, 5, v37
	s_movk_i32 s8, 0xcb
	v_lshlrev_b32_e32 v76, 5, v67
	s_waitcnt vmcnt(3)
	v_mul_f64 v[24:25], v[14:15], v[2:3]
	v_mul_f64 v[26:27], v[12:13], v[2:3]
	v_fmac_f64_e32 v[24:25], v[12:13], v[0:1]
	v_fma_f64 v[26:27], v[14:15], v[0:1], -v[26:27]
	s_waitcnt vmcnt(2)
	v_mul_f64 v[12:13], v[18:19], v[6:7]
	v_mul_f64 v[14:15], v[16:17], v[6:7]
	v_fmac_f64_e32 v[12:13], v[16:17], v[4:5]
	v_fma_f64 v[14:15], v[18:19], v[4:5], -v[14:15]
	ds_write_b128 v64, v[12:15] offset:3888
	s_waitcnt vmcnt(0)
	v_mul_f64 v[12:13], v[22:23], v[10:11]
	v_mul_f64 v[14:15], v[20:21], v[10:11]
	v_fmac_f64_e32 v[12:13], v[20:21], v[8:9]
	v_fma_f64 v[14:15], v[22:23], v[8:9], -v[14:15]
	ds_write_b128 v64, v[24:27]
	ds_write_b128 v64, v[12:15] offset:7776
	s_waitcnt lgkmcnt(0)
	s_barrier
	ds_read_b128 v[12:15], v64
	ds_read_b128 v[16:19], v64 offset:3888
	ds_read_b128 v[20:23], v64 offset:7776
	s_waitcnt lgkmcnt(0)
	s_barrier
	v_add_f64 v[24:25], v[12:13], v[16:17]
	v_add_f64 v[26:27], v[16:17], v[20:21]
	;; [unrolled: 1-line block ×3, first 2 shown]
	v_add_f64 v[28:29], v[18:19], -v[22:23]
	v_add_f64 v[30:31], v[14:15], v[18:19]
	v_add_f64 v[34:35], v[16:17], -v[20:21]
	v_fmac_f64_e32 v[12:13], -0.5, v[26:27]
	v_fmac_f64_e32 v[14:15], -0.5, v[32:33]
	v_add_f64 v[16:17], v[24:25], v[20:21]
	v_add_f64 v[18:19], v[30:31], v[22:23]
	v_fma_f64 v[20:21], s[2:3], v[28:29], v[12:13]
	v_fmac_f64_e32 v[12:13], s[6:7], v[28:29]
	v_fma_f64 v[22:23], s[6:7], v[34:35], v[14:15]
	v_fmac_f64_e32 v[14:15], s[2:3], v[34:35]
	ds_write_b128 v69, v[16:19]
	ds_write_b128 v69, v[20:23] offset:16
	ds_write_b128 v69, v[12:15] offset:32
	s_waitcnt lgkmcnt(0)
	s_barrier
	global_load_dwordx4 v[16:19], v38, s[10:11]
	global_load_dwordx4 v[12:15], v38, s[10:11] offset:16
	v_mov_b32_e32 v20, 57
	v_mul_lo_u16_sdwa v20, v67, v20 dst_sel:DWORD dst_unused:UNUSED_PAD src0_sel:BYTE_0 src1_sel:DWORD
	v_lshrrev_b16_e32 v42, 9, v20
	v_mul_lo_u16_e32 v21, 9, v42
	v_mul_u32_u24_e32 v20, 9, v36
	v_sub_u16_e32 v21, v67, v21
	v_and_b32_e32 v43, 0xff, v21
	v_add_lshl_u32 v70, v20, v37, 4
	ds_read_b128 v[20:23], v64
	ds_read_b128 v[24:27], v64 offset:3888
	ds_read_b128 v[28:31], v64 offset:7776
	v_lshlrev_b32_e32 v44, 5, v43
	s_waitcnt lgkmcnt(0)
	s_barrier
	s_waitcnt vmcnt(1)
	v_mul_f64 v[32:33], v[26:27], v[18:19]
	v_mul_f64 v[34:35], v[24:25], v[18:19]
	s_waitcnt vmcnt(0)
	v_mul_f64 v[36:37], v[30:31], v[14:15]
	v_mul_f64 v[38:39], v[28:29], v[14:15]
	v_fma_f64 v[24:25], v[24:25], v[16:17], -v[32:33]
	v_fmac_f64_e32 v[34:35], v[26:27], v[16:17]
	v_fma_f64 v[26:27], v[28:29], v[12:13], -v[36:37]
	v_fmac_f64_e32 v[38:39], v[30:31], v[12:13]
	v_add_f64 v[30:31], v[24:25], v[26:27]
	v_add_f64 v[32:33], v[34:35], -v[38:39]
	v_add_f64 v[36:37], v[22:23], v[34:35]
	v_add_f64 v[34:35], v[34:35], v[38:39]
	;; [unrolled: 1-line block ×3, first 2 shown]
	v_add_f64 v[40:41], v[24:25], -v[26:27]
	v_fmac_f64_e32 v[20:21], -0.5, v[30:31]
	v_fmac_f64_e32 v[22:23], -0.5, v[34:35]
	v_add_f64 v[24:25], v[28:29], v[26:27]
	v_add_f64 v[26:27], v[36:37], v[38:39]
	v_fma_f64 v[28:29], s[2:3], v[32:33], v[20:21]
	v_fmac_f64_e32 v[20:21], s[6:7], v[32:33]
	v_fma_f64 v[30:31], s[6:7], v[40:41], v[22:23]
	v_fmac_f64_e32 v[22:23], s[2:3], v[40:41]
	ds_write_b128 v70, v[24:27]
	ds_write_b128 v70, v[28:31] offset:48
	ds_write_b128 v70, v[20:23] offset:96
	s_waitcnt lgkmcnt(0)
	s_barrier
	global_load_dwordx4 v[24:27], v44, s[10:11] offset:96
	global_load_dwordx4 v[20:23], v44, s[10:11] offset:112
	v_mov_b32_e32 v28, 19
	v_mul_lo_u16_sdwa v28, v67, v28 dst_sel:DWORD dst_unused:UNUSED_PAD src0_sel:BYTE_0 src1_sel:DWORD
	v_lshrrev_b16_e32 v50, 9, v28
	v_mul_lo_u16_e32 v29, 27, v50
	v_mul_u32_u24_e32 v28, 27, v42
	v_sub_u16_e32 v29, v67, v29
	v_and_b32_e32 v51, 0xff, v29
	v_add_lshl_u32 v71, v28, v43, 4
	ds_read_b128 v[28:31], v64 offset:7776
	ds_read_b128 v[32:35], v64 offset:3888
	ds_read_b128 v[36:39], v64
	v_lshlrev_b32_e32 v52, 5, v51
	s_waitcnt lgkmcnt(0)
	s_barrier
	s_waitcnt vmcnt(1)
	v_mul_f64 v[40:41], v[34:35], v[26:27]
	v_mul_f64 v[42:43], v[32:33], v[26:27]
	s_waitcnt vmcnt(0)
	v_mul_f64 v[44:45], v[30:31], v[22:23]
	v_mul_f64 v[46:47], v[28:29], v[22:23]
	v_fma_f64 v[32:33], v[32:33], v[24:25], -v[40:41]
	v_fmac_f64_e32 v[42:43], v[34:35], v[24:25]
	v_fma_f64 v[28:29], v[28:29], v[20:21], -v[44:45]
	v_fmac_f64_e32 v[46:47], v[30:31], v[20:21]
	v_add_f64 v[40:41], v[42:43], -v[46:47]
	v_add_f64 v[30:31], v[38:39], v[42:43]
	v_add_f64 v[42:43], v[42:43], v[46:47]
	;; [unrolled: 1-line block ×4, first 2 shown]
	v_add_f64 v[48:49], v[32:33], -v[28:29]
	v_fmac_f64_e32 v[36:37], -0.5, v[44:45]
	v_fmac_f64_e32 v[38:39], -0.5, v[42:43]
	v_add_f64 v[30:31], v[30:31], v[46:47]
	v_add_f64 v[28:29], v[34:35], v[28:29]
	v_fma_f64 v[32:33], s[2:3], v[40:41], v[36:37]
	v_fma_f64 v[34:35], s[6:7], v[48:49], v[38:39]
	v_fmac_f64_e32 v[36:37], s[6:7], v[40:41]
	v_fmac_f64_e32 v[38:39], s[2:3], v[48:49]
	ds_write_b128 v71, v[28:31]
	ds_write_b128 v71, v[32:35] offset:144
	ds_write_b128 v71, v[36:39] offset:288
	s_waitcnt lgkmcnt(0)
	s_barrier
	global_load_dwordx4 v[32:35], v52, s[10:11] offset:384
	global_load_dwordx4 v[28:31], v52, s[10:11] offset:400
	v_mul_lo_u16_sdwa v36, v67, s8 dst_sel:DWORD dst_unused:UNUSED_PAD src0_sel:BYTE_0 src1_sel:DWORD
	v_lshrrev_b16_e32 v56, 14, v36
	v_mul_lo_u16_e32 v37, 0x51, v56
	v_mul_u32_u24_e32 v36, 0x51, v50
	v_sub_u16_e32 v37, v67, v37
	v_and_b32_e32 v57, 0xff, v37
	v_add_lshl_u32 v72, v36, v51, 4
	ds_read_b128 v[36:39], v64 offset:7776
	ds_read_b128 v[40:43], v64 offset:3888
	ds_read_b128 v[44:47], v64
	v_lshlrev_b32_e32 v58, 5, v57
	s_waitcnt lgkmcnt(0)
	s_barrier
	s_mov_b64 s[8:9], 0x2d90
	v_lshl_add_u64 v[78:79], v[60:61], 0, s[8:9]
	s_mov_b32 s8, 0xe0bf08c7
	s_mov_b32 s9, 0x3f567980
	s_waitcnt vmcnt(1)
	v_mul_f64 v[48:49], v[42:43], v[34:35]
	v_mul_f64 v[50:51], v[40:41], v[34:35]
	s_waitcnt vmcnt(0)
	v_mul_f64 v[52:53], v[38:39], v[30:31]
	v_mul_f64 v[54:55], v[36:37], v[30:31]
	v_fma_f64 v[40:41], v[40:41], v[32:33], -v[48:49]
	v_fmac_f64_e32 v[50:51], v[42:43], v[32:33]
	v_fma_f64 v[36:37], v[36:37], v[28:29], -v[52:53]
	v_fmac_f64_e32 v[54:55], v[38:39], v[28:29]
	v_add_f64 v[42:43], v[44:45], v[40:41]
	v_add_f64 v[38:39], v[46:47], v[50:51]
	v_add_f64 v[48:49], v[50:51], -v[54:55]
	v_add_f64 v[50:51], v[50:51], v[54:55]
	v_add_f64 v[52:53], v[40:41], v[36:37]
	v_add_f64 v[40:41], v[40:41], -v[36:37]
	v_add_f64 v[38:39], v[38:39], v[54:55]
	v_add_f64 v[36:37], v[42:43], v[36:37]
	v_fmac_f64_e32 v[44:45], -0.5, v[52:53]
	v_fmac_f64_e32 v[46:47], -0.5, v[50:51]
	ds_write_b128 v72, v[36:39]
	v_fma_f64 v[36:37], s[2:3], v[48:49], v[44:45]
	v_fma_f64 v[38:39], s[6:7], v[40:41], v[46:47]
	v_fmac_f64_e32 v[44:45], s[6:7], v[48:49]
	v_fmac_f64_e32 v[46:47], s[2:3], v[40:41]
	ds_write_b128 v72, v[36:39] offset:432
	ds_write_b128 v72, v[44:47] offset:864
	s_waitcnt lgkmcnt(0)
	s_barrier
	global_load_dwordx4 v[36:39], v58, s[10:11] offset:1248
	global_load_dwordx4 v[40:43], v58, s[10:11] offset:1264
	v_mul_u32_u24_e32 v44, 0xf3, v56
	v_add_lshl_u32 v73, v44, v57, 4
	ds_read_b128 v[44:47], v64 offset:7776
	ds_read_b128 v[48:51], v64 offset:3888
	ds_read_b128 v[52:55], v64
	s_waitcnt lgkmcnt(0)
	s_barrier
	s_waitcnt vmcnt(1)
	v_mul_f64 v[56:57], v[50:51], v[38:39]
	v_mul_f64 v[58:59], v[48:49], v[38:39]
	s_waitcnt vmcnt(0)
	v_mul_f64 v[62:63], v[46:47], v[42:43]
	v_mul_f64 v[74:75], v[44:45], v[42:43]
	v_fma_f64 v[48:49], v[48:49], v[36:37], -v[56:57]
	v_fmac_f64_e32 v[58:59], v[50:51], v[36:37]
	v_fma_f64 v[44:45], v[44:45], v[40:41], -v[62:63]
	v_fmac_f64_e32 v[74:75], v[46:47], v[40:41]
	v_add_f64 v[46:47], v[52:53], v[48:49]
	v_add_f64 v[50:51], v[54:55], v[58:59]
	v_add_f64 v[56:57], v[58:59], -v[74:75]
	v_add_f64 v[58:59], v[58:59], v[74:75]
	v_add_f64 v[62:63], v[48:49], v[44:45]
	v_add_f64 v[48:49], v[48:49], -v[44:45]
	v_add_f64 v[44:45], v[46:47], v[44:45]
	v_add_f64 v[46:47], v[50:51], v[74:75]
	v_fmac_f64_e32 v[52:53], -0.5, v[62:63]
	v_fmac_f64_e32 v[54:55], -0.5, v[58:59]
	ds_write_b128 v73, v[44:47]
	v_fma_f64 v[44:45], s[2:3], v[56:57], v[52:53]
	v_fma_f64 v[46:47], s[6:7], v[48:49], v[54:55]
	v_fmac_f64_e32 v[52:53], s[6:7], v[56:57]
	v_fmac_f64_e32 v[54:55], s[2:3], v[48:49]
	ds_write_b128 v73, v[44:47] offset:1296
	ds_write_b128 v73, v[52:55] offset:2592
	s_waitcnt lgkmcnt(0)
	s_barrier
	global_load_dwordx4 v[44:47], v76, s[10:11] offset:3840
	global_load_dwordx4 v[48:51], v76, s[10:11] offset:3856
	ds_read_b128 v[52:55], v64 offset:3888
	ds_read_b128 v[74:77], v64
	ds_read_b128 v[56:59], v64 offset:7776
	s_movk_i32 s10, 0x2000
	v_add_co_u32_e32 v62, vcc, s10, v60
	s_movk_i32 s11, 0x4000
	s_nop 0
	v_addc_co_u32_e32 v63, vcc, 0, v61, vcc
	v_add_co_u32_e32 v60, vcc, s11, v60
	s_waitcnt vmcnt(1) lgkmcnt(2)
	v_mul_f64 v[80:81], v[54:55], v[46:47]
	v_mul_f64 v[82:83], v[52:53], v[46:47]
	s_waitcnt vmcnt(0) lgkmcnt(0)
	v_mul_f64 v[84:85], v[58:59], v[50:51]
	v_mul_f64 v[86:87], v[56:57], v[50:51]
	v_fma_f64 v[52:53], v[52:53], v[44:45], -v[80:81]
	v_fmac_f64_e32 v[82:83], v[54:55], v[44:45]
	v_fma_f64 v[54:55], v[56:57], v[48:49], -v[84:85]
	v_fmac_f64_e32 v[86:87], v[58:59], v[48:49]
	v_add_f64 v[56:57], v[74:75], v[52:53]
	v_add_f64 v[58:59], v[76:77], v[82:83]
	v_add_f64 v[80:81], v[82:83], -v[86:87]
	v_add_f64 v[82:83], v[82:83], v[86:87]
	v_add_f64 v[84:85], v[52:53], v[54:55]
	v_add_f64 v[88:89], v[52:53], -v[54:55]
	v_add_f64 v[52:53], v[56:57], v[54:55]
	v_add_f64 v[54:55], v[58:59], v[86:87]
	v_fmac_f64_e32 v[74:75], -0.5, v[84:85]
	v_fmac_f64_e32 v[76:77], -0.5, v[82:83]
	ds_write_b128 v64, v[52:55]
	v_fma_f64 v[52:53], s[2:3], v[80:81], v[74:75]
	v_fma_f64 v[54:55], s[6:7], v[88:89], v[76:77]
	v_fmac_f64_e32 v[74:75], s[6:7], v[80:81]
	v_fmac_f64_e32 v[76:77], s[2:3], v[88:89]
	ds_write_b128 v64, v[52:55] offset:3888
	ds_write_b128 v64, v[74:77] offset:7776
	s_waitcnt lgkmcnt(0)
	s_barrier
	global_load_dwordx4 v[56:59], v[62:63], off offset:3472
	global_load_dwordx4 v[52:55], v[78:79], off offset:3888
	v_addc_co_u32_e32 v61, vcc, 0, v61, vcc
	global_load_dwordx4 v[60:63], v[60:61], off offset:3056
	v_mov_b32_e32 v78, s0
	v_mov_b32_e32 v79, s1
	v_mad_u64_u32 v[80:81], s[0:1], s4, v67, 0
	v_mov_b32_e32 v74, v81
	v_mad_u64_u32 v[74:75], s[10:11], s5, v67, v[74:75]
	v_mov_b32_e32 v67, v68
	v_mov_b32_e32 v81, v74
	ds_read_b128 v[74:77], v64
	v_lshl_add_u64 v[66:67], v[66:67], 4, v[78:79]
	v_lshl_add_u64 v[66:67], v[80:81], 4, v[66:67]
	ds_read_b128 v[78:81], v64 offset:3888
	ds_read_b128 v[82:85], v64 offset:7776
	s_mul_i32 s0, s5, 0xf30
	s_waitcnt vmcnt(2) lgkmcnt(2)
	v_mul_f64 v[86:87], v[76:77], v[58:59]
	v_mul_f64 v[88:89], v[74:75], v[58:59]
	v_fma_f64 v[86:87], v[74:75], v[56:57], -v[86:87]
	s_waitcnt vmcnt(1) lgkmcnt(1)
	v_mul_f64 v[58:59], v[80:81], v[54:55]
	v_fmac_f64_e32 v[88:89], v[76:77], v[56:57]
	v_mul_f64 v[56:57], v[78:79], v[54:55]
	s_waitcnt vmcnt(0) lgkmcnt(0)
	v_mul_f64 v[74:75], v[84:85], v[62:63]
	v_fma_f64 v[54:55], v[78:79], v[52:53], -v[58:59]
	v_mul_f64 v[76:77], v[82:83], v[62:63]
	v_fmac_f64_e32 v[56:57], v[80:81], v[52:53]
	v_fma_f64 v[74:75], v[82:83], v[60:61], -v[74:75]
	v_fmac_f64_e32 v[76:77], v[84:85], v[60:61]
	ds_write_b128 v64, v[86:89]
	ds_write_b128 v64, v[54:57] offset:3888
	ds_write_b128 v64, v[74:77] offset:7776
	s_waitcnt lgkmcnt(0)
	s_barrier
	ds_read_b128 v[52:55], v64
	ds_read_b128 v[56:59], v64 offset:3888
	ds_read_b128 v[60:63], v64 offset:7776
	s_waitcnt lgkmcnt(0)
	s_barrier
	v_add_f64 v[74:75], v[52:53], v[56:57]
	v_add_f64 v[76:77], v[56:57], v[60:61]
	;; [unrolled: 1-line block ×4, first 2 shown]
	v_add_f64 v[78:79], v[58:59], -v[62:63]
	v_add_f64 v[84:85], v[56:57], -v[60:61]
	v_add_f64 v[56:57], v[74:75], v[60:61]
	v_add_f64 v[58:59], v[80:81], v[62:63]
	v_fmac_f64_e32 v[52:53], -0.5, v[76:77]
	v_fmac_f64_e32 v[54:55], -0.5, v[82:83]
	ds_write_b128 v69, v[56:59]
	v_fma_f64 v[56:57], s[6:7], v[78:79], v[52:53]
	v_fma_f64 v[58:59], s[2:3], v[84:85], v[54:55]
	v_fmac_f64_e32 v[52:53], s[2:3], v[78:79]
	v_fmac_f64_e32 v[54:55], s[6:7], v[84:85]
	ds_write_b128 v69, v[56:59] offset:16
	ds_write_b128 v69, v[52:55] offset:32
	s_waitcnt lgkmcnt(0)
	s_barrier
	ds_read_b128 v[52:55], v64 offset:7776
	ds_read_b128 v[56:59], v64 offset:3888
	ds_read_b128 v[60:63], v64
	s_waitcnt lgkmcnt(0)
	s_barrier
	v_mul_f64 v[74:75], v[14:15], v[54:55]
	v_mul_f64 v[68:69], v[18:19], v[58:59]
	;; [unrolled: 1-line block ×4, first 2 shown]
	v_fmac_f64_e32 v[68:69], v[16:17], v[56:57]
	v_fma_f64 v[16:17], v[16:17], v[58:59], -v[18:19]
	v_fmac_f64_e32 v[74:75], v[12:13], v[52:53]
	v_fma_f64 v[12:13], v[12:13], v[54:55], -v[14:15]
	v_add_f64 v[14:15], v[62:63], v[16:17]
	v_add_f64 v[18:19], v[16:17], -v[12:13]
	v_add_f64 v[16:17], v[16:17], v[12:13]
	v_add_f64 v[52:53], v[60:61], v[68:69]
	;; [unrolled: 1-line block ×3, first 2 shown]
	v_add_f64 v[56:57], v[68:69], -v[74:75]
	v_add_f64 v[14:15], v[14:15], v[12:13]
	v_add_f64 v[12:13], v[52:53], v[74:75]
	v_fmac_f64_e32 v[60:61], -0.5, v[54:55]
	v_fmac_f64_e32 v[62:63], -0.5, v[16:17]
	ds_write_b128 v70, v[12:15]
	v_fma_f64 v[12:13], s[6:7], v[18:19], v[60:61]
	v_fma_f64 v[14:15], s[2:3], v[56:57], v[62:63]
	v_fmac_f64_e32 v[60:61], s[2:3], v[18:19]
	v_fmac_f64_e32 v[62:63], s[6:7], v[56:57]
	ds_write_b128 v70, v[12:15] offset:48
	ds_write_b128 v70, v[60:63] offset:96
	s_waitcnt lgkmcnt(0)
	s_barrier
	ds_read_b128 v[12:15], v64 offset:7776
	ds_read_b128 v[16:19], v64 offset:3888
	ds_read_b128 v[52:55], v64
	s_waitcnt lgkmcnt(0)
	s_barrier
	v_mul_f64 v[58:59], v[22:23], v[14:15]
	v_mul_f64 v[56:57], v[26:27], v[18:19]
	;; [unrolled: 1-line block ×4, first 2 shown]
	v_fmac_f64_e32 v[56:57], v[24:25], v[16:17]
	v_fma_f64 v[16:17], v[24:25], v[18:19], -v[26:27]
	v_fmac_f64_e32 v[58:59], v[20:21], v[12:13]
	v_fma_f64 v[12:13], v[20:21], v[14:15], -v[22:23]
	v_add_f64 v[18:19], v[16:17], -v[12:13]
	v_add_f64 v[14:15], v[54:55], v[16:17]
	v_add_f64 v[16:17], v[16:17], v[12:13]
	;; [unrolled: 1-line block ×4, first 2 shown]
	v_add_f64 v[24:25], v[56:57], -v[58:59]
	v_fmac_f64_e32 v[52:53], -0.5, v[22:23]
	v_fmac_f64_e32 v[54:55], -0.5, v[16:17]
	v_add_f64 v[14:15], v[14:15], v[12:13]
	v_add_f64 v[12:13], v[20:21], v[58:59]
	v_fma_f64 v[16:17], s[6:7], v[18:19], v[52:53]
	v_fmac_f64_e32 v[52:53], s[2:3], v[18:19]
	v_fma_f64 v[18:19], s[2:3], v[24:25], v[54:55]
	v_fmac_f64_e32 v[54:55], s[6:7], v[24:25]
	ds_write_b128 v71, v[12:15]
	ds_write_b128 v71, v[16:19] offset:144
	ds_write_b128 v71, v[52:55] offset:288
	s_waitcnt lgkmcnt(0)
	s_barrier
	ds_read_b128 v[12:15], v64
	ds_read_b128 v[16:19], v64 offset:3888
	ds_read_b128 v[20:23], v64 offset:7776
	s_waitcnt lgkmcnt(0)
	s_barrier
	v_mul_f64 v[24:25], v[34:35], v[18:19]
	v_mul_f64 v[26:27], v[34:35], v[16:17]
	;; [unrolled: 1-line block ×4, first 2 shown]
	v_fmac_f64_e32 v[24:25], v[32:33], v[16:17]
	v_fma_f64 v[16:17], v[32:33], v[18:19], -v[26:27]
	v_fmac_f64_e32 v[34:35], v[28:29], v[20:21]
	v_fma_f64 v[18:19], v[28:29], v[22:23], -v[30:31]
	v_add_f64 v[22:23], v[24:25], v[34:35]
	v_add_f64 v[30:31], v[16:17], v[18:19]
	;; [unrolled: 1-line block ×3, first 2 shown]
	v_add_f64 v[26:27], v[16:17], -v[18:19]
	v_add_f64 v[28:29], v[14:15], v[16:17]
	v_add_f64 v[24:25], v[24:25], -v[34:35]
	v_fmac_f64_e32 v[12:13], -0.5, v[22:23]
	v_fmac_f64_e32 v[14:15], -0.5, v[30:31]
	v_add_f64 v[16:17], v[20:21], v[34:35]
	v_add_f64 v[18:19], v[28:29], v[18:19]
	v_fma_f64 v[20:21], s[6:7], v[26:27], v[12:13]
	v_fmac_f64_e32 v[12:13], s[2:3], v[26:27]
	v_fma_f64 v[22:23], s[2:3], v[24:25], v[14:15]
	v_fmac_f64_e32 v[14:15], s[6:7], v[24:25]
	ds_write_b128 v72, v[16:19]
	ds_write_b128 v72, v[20:23] offset:432
	ds_write_b128 v72, v[12:15] offset:864
	s_waitcnt lgkmcnt(0)
	s_barrier
	ds_read_b128 v[12:15], v64
	ds_read_b128 v[16:19], v64 offset:3888
	ds_read_b128 v[20:23], v64 offset:7776
	s_waitcnt lgkmcnt(0)
	s_barrier
	v_mul_f64 v[24:25], v[38:39], v[18:19]
	v_mul_f64 v[26:27], v[38:39], v[16:17]
	;; [unrolled: 1-line block ×4, first 2 shown]
	v_fmac_f64_e32 v[24:25], v[36:37], v[16:17]
	v_fma_f64 v[16:17], v[36:37], v[18:19], -v[26:27]
	v_fmac_f64_e32 v[28:29], v[40:41], v[20:21]
	v_fma_f64 v[18:19], v[40:41], v[22:23], -v[30:31]
	v_add_f64 v[22:23], v[24:25], v[28:29]
	v_add_f64 v[32:33], v[16:17], v[18:19]
	;; [unrolled: 1-line block ×3, first 2 shown]
	v_add_f64 v[26:27], v[16:17], -v[18:19]
	v_add_f64 v[30:31], v[14:15], v[16:17]
	v_add_f64 v[24:25], v[24:25], -v[28:29]
	v_fmac_f64_e32 v[12:13], -0.5, v[22:23]
	v_fmac_f64_e32 v[14:15], -0.5, v[32:33]
	v_add_f64 v[16:17], v[20:21], v[28:29]
	v_add_f64 v[18:19], v[30:31], v[18:19]
	v_fma_f64 v[20:21], s[6:7], v[26:27], v[12:13]
	v_fmac_f64_e32 v[12:13], s[2:3], v[26:27]
	v_fma_f64 v[22:23], s[2:3], v[24:25], v[14:15]
	v_fmac_f64_e32 v[14:15], s[6:7], v[24:25]
	ds_write_b128 v73, v[16:19]
	ds_write_b128 v73, v[20:23] offset:1296
	ds_write_b128 v73, v[12:15] offset:2592
	s_waitcnt lgkmcnt(0)
	s_barrier
	ds_read_b128 v[12:15], v64 offset:3888
	ds_read_b128 v[20:23], v64
	ds_read_b128 v[16:19], v64 offset:7776
	v_mad_u64_u32 v[24:25], s[10:11], s4, v65, v[66:67]
	s_waitcnt lgkmcnt(2)
	v_mul_f64 v[26:27], v[46:47], v[14:15]
	v_mul_f64 v[28:29], v[46:47], v[12:13]
	s_waitcnt lgkmcnt(0)
	v_mul_f64 v[30:31], v[50:51], v[18:19]
	v_mul_f64 v[32:33], v[50:51], v[16:17]
	v_fmac_f64_e32 v[26:27], v[44:45], v[12:13]
	v_fma_f64 v[12:13], v[44:45], v[14:15], -v[28:29]
	v_fmac_f64_e32 v[30:31], v[48:49], v[16:17]
	v_fma_f64 v[14:15], v[48:49], v[18:19], -v[32:33]
	v_add_f64 v[16:17], v[20:21], v[26:27]
	v_add_f64 v[18:19], v[26:27], v[30:31]
	;; [unrolled: 1-line block ×4, first 2 shown]
	v_add_f64 v[28:29], v[12:13], -v[14:15]
	v_add_f64 v[26:27], v[26:27], -v[30:31]
	v_add_f64 v[12:13], v[16:17], v[30:31]
	v_fmac_f64_e32 v[20:21], -0.5, v[18:19]
	v_add_f64 v[14:15], v[32:33], v[14:15]
	v_fmac_f64_e32 v[22:23], -0.5, v[34:35]
	v_fma_f64 v[16:17], s[6:7], v[28:29], v[20:21]
	v_fmac_f64_e32 v[20:21], s[2:3], v[28:29]
	v_fma_f64 v[18:19], s[2:3], v[26:27], v[22:23]
	v_fmac_f64_e32 v[22:23], s[6:7], v[26:27]
	ds_write_b128 v64, v[12:15]
	ds_write_b128 v64, v[16:19] offset:3888
	ds_write_b128 v64, v[20:23] offset:7776
	s_waitcnt lgkmcnt(0)
	s_barrier
	ds_read_b128 v[12:15], v64
	ds_read_b128 v[16:19], v64 offset:3888
	ds_read_b128 v[20:23], v64 offset:7776
	v_add_u32_e32 v25, s0, v25
	v_mad_u64_u32 v[26:27], s[2:3], s4, v65, v[24:25]
	s_waitcnt lgkmcnt(2)
	v_mul_f64 v[28:29], v[2:3], v[14:15]
	v_mul_f64 v[2:3], v[2:3], v[12:13]
	s_waitcnt lgkmcnt(1)
	v_mul_f64 v[30:31], v[6:7], v[18:19]
	v_mul_f64 v[6:7], v[6:7], v[16:17]
	;; [unrolled: 3-line block ×3, first 2 shown]
	v_fmac_f64_e32 v[28:29], v[0:1], v[12:13]
	v_fma_f64 v[2:3], v[0:1], v[14:15], -v[2:3]
	v_fmac_f64_e32 v[30:31], v[4:5], v[16:17]
	v_fma_f64 v[6:7], v[4:5], v[18:19], -v[6:7]
	;; [unrolled: 2-line block ×3, first 2 shown]
	v_mul_f64 v[0:1], v[28:29], s[8:9]
	v_mul_f64 v[2:3], v[2:3], s[8:9]
	v_add_u32_e32 v27, s0, v27
	v_mul_f64 v[4:5], v[30:31], s[8:9]
	v_mul_f64 v[6:7], v[6:7], s[8:9]
	v_mul_f64 v[8:9], v[32:33], s[8:9]
	v_mul_f64 v[10:11], v[10:11], s[8:9]
	global_store_dwordx4 v[66:67], v[0:3], off
	global_store_dwordx4 v[24:25], v[4:7], off
	;; [unrolled: 1-line block ×3, first 2 shown]
.LBB0_2:
	s_endpgm
	.section	.rodata,"a",@progbits
	.p2align	6, 0x0
	.amdhsa_kernel bluestein_single_back_len729_dim1_dp_op_CI_CI
		.amdhsa_group_segment_fixed_size 11664
		.amdhsa_private_segment_fixed_size 0
		.amdhsa_kernarg_size 104
		.amdhsa_user_sgpr_count 2
		.amdhsa_user_sgpr_dispatch_ptr 0
		.amdhsa_user_sgpr_queue_ptr 0
		.amdhsa_user_sgpr_kernarg_segment_ptr 1
		.amdhsa_user_sgpr_dispatch_id 0
		.amdhsa_user_sgpr_kernarg_preload_length 0
		.amdhsa_user_sgpr_kernarg_preload_offset 0
		.amdhsa_user_sgpr_private_segment_size 0
		.amdhsa_uses_dynamic_stack 0
		.amdhsa_enable_private_segment 0
		.amdhsa_system_sgpr_workgroup_id_x 1
		.amdhsa_system_sgpr_workgroup_id_y 0
		.amdhsa_system_sgpr_workgroup_id_z 0
		.amdhsa_system_sgpr_workgroup_info 0
		.amdhsa_system_vgpr_workitem_id 0
		.amdhsa_next_free_vgpr 90
		.amdhsa_next_free_sgpr 20
		.amdhsa_accum_offset 92
		.amdhsa_reserve_vcc 1
		.amdhsa_float_round_mode_32 0
		.amdhsa_float_round_mode_16_64 0
		.amdhsa_float_denorm_mode_32 3
		.amdhsa_float_denorm_mode_16_64 3
		.amdhsa_dx10_clamp 1
		.amdhsa_ieee_mode 1
		.amdhsa_fp16_overflow 0
		.amdhsa_tg_split 0
		.amdhsa_exception_fp_ieee_invalid_op 0
		.amdhsa_exception_fp_denorm_src 0
		.amdhsa_exception_fp_ieee_div_zero 0
		.amdhsa_exception_fp_ieee_overflow 0
		.amdhsa_exception_fp_ieee_underflow 0
		.amdhsa_exception_fp_ieee_inexact 0
		.amdhsa_exception_int_div_zero 0
	.end_amdhsa_kernel
	.text
.Lfunc_end0:
	.size	bluestein_single_back_len729_dim1_dp_op_CI_CI, .Lfunc_end0-bluestein_single_back_len729_dim1_dp_op_CI_CI
                                        ; -- End function
	.section	.AMDGPU.csdata,"",@progbits
; Kernel info:
; codeLenInByte = 3804
; NumSgprs: 26
; NumVgprs: 90
; NumAgprs: 0
; TotalNumVgprs: 90
; ScratchSize: 0
; MemoryBound: 0
; FloatMode: 240
; IeeeMode: 1
; LDSByteSize: 11664 bytes/workgroup (compile time only)
; SGPRBlocks: 3
; VGPRBlocks: 11
; NumSGPRsForWavesPerEU: 26
; NumVGPRsForWavesPerEU: 90
; AccumOffset: 92
; Occupancy: 5
; WaveLimiterHint : 1
; COMPUTE_PGM_RSRC2:SCRATCH_EN: 0
; COMPUTE_PGM_RSRC2:USER_SGPR: 2
; COMPUTE_PGM_RSRC2:TRAP_HANDLER: 0
; COMPUTE_PGM_RSRC2:TGID_X_EN: 1
; COMPUTE_PGM_RSRC2:TGID_Y_EN: 0
; COMPUTE_PGM_RSRC2:TGID_Z_EN: 0
; COMPUTE_PGM_RSRC2:TIDIG_COMP_CNT: 0
; COMPUTE_PGM_RSRC3_GFX90A:ACCUM_OFFSET: 22
; COMPUTE_PGM_RSRC3_GFX90A:TG_SPLIT: 0
	.text
	.p2alignl 6, 3212836864
	.fill 256, 4, 3212836864
	.type	__hip_cuid_b6d410c306d46f71,@object ; @__hip_cuid_b6d410c306d46f71
	.section	.bss,"aw",@nobits
	.globl	__hip_cuid_b6d410c306d46f71
__hip_cuid_b6d410c306d46f71:
	.byte	0                               ; 0x0
	.size	__hip_cuid_b6d410c306d46f71, 1

	.ident	"AMD clang version 19.0.0git (https://github.com/RadeonOpenCompute/llvm-project roc-6.4.0 25133 c7fe45cf4b819c5991fe208aaa96edf142730f1d)"
	.section	".note.GNU-stack","",@progbits
	.addrsig
	.addrsig_sym __hip_cuid_b6d410c306d46f71
	.amdgpu_metadata
---
amdhsa.kernels:
  - .agpr_count:     0
    .args:
      - .actual_access:  read_only
        .address_space:  global
        .offset:         0
        .size:           8
        .value_kind:     global_buffer
      - .actual_access:  read_only
        .address_space:  global
        .offset:         8
        .size:           8
        .value_kind:     global_buffer
      - .actual_access:  read_only
        .address_space:  global
        .offset:         16
        .size:           8
        .value_kind:     global_buffer
      - .actual_access:  read_only
        .address_space:  global
        .offset:         24
        .size:           8
        .value_kind:     global_buffer
      - .actual_access:  read_only
        .address_space:  global
        .offset:         32
        .size:           8
        .value_kind:     global_buffer
      - .offset:         40
        .size:           8
        .value_kind:     by_value
      - .address_space:  global
        .offset:         48
        .size:           8
        .value_kind:     global_buffer
      - .address_space:  global
        .offset:         56
        .size:           8
        .value_kind:     global_buffer
      - .address_space:  global
        .offset:         64
        .size:           8
        .value_kind:     global_buffer
      - .address_space:  global
        .offset:         72
        .size:           8
        .value_kind:     global_buffer
      - .offset:         80
        .size:           4
        .value_kind:     by_value
      - .address_space:  global
        .offset:         88
        .size:           8
        .value_kind:     global_buffer
      - .address_space:  global
        .offset:         96
        .size:           8
        .value_kind:     global_buffer
    .group_segment_fixed_size: 11664
    .kernarg_segment_align: 8
    .kernarg_segment_size: 104
    .language:       OpenCL C
    .language_version:
      - 2
      - 0
    .max_flat_workgroup_size: 243
    .name:           bluestein_single_back_len729_dim1_dp_op_CI_CI
    .private_segment_fixed_size: 0
    .sgpr_count:     26
    .sgpr_spill_count: 0
    .symbol:         bluestein_single_back_len729_dim1_dp_op_CI_CI.kd
    .uniform_work_group_size: 1
    .uses_dynamic_stack: false
    .vgpr_count:     90
    .vgpr_spill_count: 0
    .wavefront_size: 64
amdhsa.target:   amdgcn-amd-amdhsa--gfx950
amdhsa.version:
  - 1
  - 2
...

	.end_amdgpu_metadata
